;; amdgpu-corpus repo=ROCm/rocFFT kind=compiled arch=gfx906 opt=O3
	.text
	.amdgcn_target "amdgcn-amd-amdhsa--gfx906"
	.amdhsa_code_object_version 6
	.protected	fft_rtc_back_len490_factors_10_7_7_wgs_210_tpt_70_dp_op_CI_CI_unitstride_sbrr_dirReg ; -- Begin function fft_rtc_back_len490_factors_10_7_7_wgs_210_tpt_70_dp_op_CI_CI_unitstride_sbrr_dirReg
	.globl	fft_rtc_back_len490_factors_10_7_7_wgs_210_tpt_70_dp_op_CI_CI_unitstride_sbrr_dirReg
	.p2align	8
	.type	fft_rtc_back_len490_factors_10_7_7_wgs_210_tpt_70_dp_op_CI_CI_unitstride_sbrr_dirReg,@function
fft_rtc_back_len490_factors_10_7_7_wgs_210_tpt_70_dp_op_CI_CI_unitstride_sbrr_dirReg: ; @fft_rtc_back_len490_factors_10_7_7_wgs_210_tpt_70_dp_op_CI_CI_unitstride_sbrr_dirReg
; %bb.0:
	v_mul_u32_u24_e32 v1, 0x3a9, v0
	s_load_dwordx4 s[8:11], s[4:5], 0x58
	s_load_dwordx4 s[12:15], s[4:5], 0x0
	;; [unrolled: 1-line block ×3, first 2 shown]
	v_lshrrev_b32_e32 v1, 16, v1
	v_mad_u64_u32 v[47:48], s[0:1], s6, 3, v[1:2]
	v_mov_b32_e32 v1, 0
	s_waitcnt lgkmcnt(0)
	v_cmp_lt_u64_e64 s[0:1], s[14:15], 2
	v_mov_b32_e32 v49, 0
	v_mov_b32_e32 v48, v1
	;; [unrolled: 1-line block ×5, first 2 shown]
	s_and_b64 vcc, exec, s[0:1]
	v_mov_b32_e32 v41, v50
	v_mov_b32_e32 v43, v48
	s_cbranch_vccnz .LBB0_8
; %bb.1:
	s_load_dwordx2 s[0:1], s[4:5], 0x10
	s_add_u32 s2, s18, 8
	s_addc_u32 s3, s19, 0
	s_add_u32 s6, s16, 8
	s_addc_u32 s7, s17, 0
	v_mov_b32_e32 v49, 0
	s_waitcnt lgkmcnt(0)
	s_add_u32 s20, s0, 8
	v_mov_b32_e32 v50, 0
	v_mov_b32_e32 v40, v49
	;; [unrolled: 1-line block ×3, first 2 shown]
	s_addc_u32 s21, s1, 0
	s_mov_b64 s[22:23], 1
	v_mov_b32_e32 v41, v50
	v_mov_b32_e32 v4, v48
.LBB0_2:                                ; =>This Inner Loop Header: Depth=1
	s_load_dwordx2 s[24:25], s[20:21], 0x0
                                        ; implicit-def: $vgpr42_vgpr43
	s_waitcnt lgkmcnt(0)
	v_or_b32_e32 v2, s25, v4
	v_cmp_ne_u64_e32 vcc, 0, v[1:2]
	s_and_saveexec_b64 s[0:1], vcc
	s_xor_b64 s[26:27], exec, s[0:1]
	s_cbranch_execz .LBB0_4
; %bb.3:                                ;   in Loop: Header=BB0_2 Depth=1
	v_cvt_f32_u32_e32 v2, s24
	v_cvt_f32_u32_e32 v5, s25
	s_sub_u32 s0, 0, s24
	s_subb_u32 s1, 0, s25
	v_mac_f32_e32 v2, 0x4f800000, v5
	v_rcp_f32_e32 v2, v2
	v_mul_f32_e32 v2, 0x5f7ffffc, v2
	v_mul_f32_e32 v5, 0x2f800000, v2
	v_trunc_f32_e32 v5, v5
	v_mac_f32_e32 v2, 0xcf800000, v5
	v_cvt_u32_f32_e32 v5, v5
	v_cvt_u32_f32_e32 v2, v2
	v_mul_lo_u32 v6, s0, v5
	v_mul_hi_u32 v7, s0, v2
	v_mul_lo_u32 v9, s1, v2
	v_mul_lo_u32 v8, s0, v2
	v_add_u32_e32 v6, v7, v6
	v_add_u32_e32 v6, v6, v9
	v_mul_hi_u32 v7, v2, v8
	v_mul_lo_u32 v9, v2, v6
	v_mul_hi_u32 v11, v2, v6
	v_mul_hi_u32 v10, v5, v8
	v_mul_lo_u32 v8, v5, v8
	v_mul_hi_u32 v12, v5, v6
	v_add_co_u32_e32 v7, vcc, v7, v9
	v_addc_co_u32_e32 v9, vcc, 0, v11, vcc
	v_mul_lo_u32 v6, v5, v6
	v_add_co_u32_e32 v7, vcc, v7, v8
	v_addc_co_u32_e32 v7, vcc, v9, v10, vcc
	v_addc_co_u32_e32 v8, vcc, 0, v12, vcc
	v_add_co_u32_e32 v6, vcc, v7, v6
	v_addc_co_u32_e32 v7, vcc, 0, v8, vcc
	v_add_co_u32_e32 v2, vcc, v2, v6
	v_addc_co_u32_e32 v5, vcc, v5, v7, vcc
	v_mul_lo_u32 v6, s0, v5
	v_mul_hi_u32 v7, s0, v2
	v_mul_lo_u32 v8, s1, v2
	v_mul_lo_u32 v9, s0, v2
	v_add_u32_e32 v6, v7, v6
	v_add_u32_e32 v6, v6, v8
	v_mul_lo_u32 v10, v2, v6
	v_mul_hi_u32 v11, v2, v9
	v_mul_hi_u32 v12, v2, v6
	;; [unrolled: 1-line block ×3, first 2 shown]
	v_mul_lo_u32 v9, v5, v9
	v_mul_hi_u32 v7, v5, v6
	v_add_co_u32_e32 v10, vcc, v11, v10
	v_addc_co_u32_e32 v11, vcc, 0, v12, vcc
	v_mul_lo_u32 v6, v5, v6
	v_add_co_u32_e32 v9, vcc, v10, v9
	v_addc_co_u32_e32 v8, vcc, v11, v8, vcc
	v_addc_co_u32_e32 v7, vcc, 0, v7, vcc
	v_add_co_u32_e32 v6, vcc, v8, v6
	v_addc_co_u32_e32 v7, vcc, 0, v7, vcc
	v_add_co_u32_e32 v2, vcc, v2, v6
	v_addc_co_u32_e32 v7, vcc, v5, v7, vcc
	v_mad_u64_u32 v[5:6], s[0:1], v3, v7, 0
	v_mul_hi_u32 v8, v3, v2
	v_add_co_u32_e32 v9, vcc, v8, v5
	v_addc_co_u32_e32 v10, vcc, 0, v6, vcc
	v_mad_u64_u32 v[5:6], s[0:1], v4, v2, 0
	v_mad_u64_u32 v[7:8], s[0:1], v4, v7, 0
	v_add_co_u32_e32 v2, vcc, v9, v5
	v_addc_co_u32_e32 v2, vcc, v10, v6, vcc
	v_addc_co_u32_e32 v5, vcc, 0, v8, vcc
	v_add_co_u32_e32 v2, vcc, v2, v7
	v_addc_co_u32_e32 v7, vcc, 0, v5, vcc
	v_mul_lo_u32 v8, s25, v2
	v_mul_lo_u32 v9, s24, v7
	v_mad_u64_u32 v[5:6], s[0:1], s24, v2, 0
	v_add3_u32 v6, v6, v9, v8
	v_sub_u32_e32 v8, v4, v6
	v_mov_b32_e32 v9, s25
	v_sub_co_u32_e32 v5, vcc, v3, v5
	v_subb_co_u32_e64 v8, s[0:1], v8, v9, vcc
	v_subrev_co_u32_e64 v9, s[0:1], s24, v5
	v_subbrev_co_u32_e64 v8, s[0:1], 0, v8, s[0:1]
	v_cmp_le_u32_e64 s[0:1], s25, v8
	v_cndmask_b32_e64 v10, 0, -1, s[0:1]
	v_cmp_le_u32_e64 s[0:1], s24, v9
	v_cndmask_b32_e64 v9, 0, -1, s[0:1]
	v_cmp_eq_u32_e64 s[0:1], s25, v8
	v_cndmask_b32_e64 v8, v10, v9, s[0:1]
	v_add_co_u32_e64 v9, s[0:1], 2, v2
	v_addc_co_u32_e64 v10, s[0:1], 0, v7, s[0:1]
	v_add_co_u32_e64 v11, s[0:1], 1, v2
	v_addc_co_u32_e64 v12, s[0:1], 0, v7, s[0:1]
	v_subb_co_u32_e32 v6, vcc, v4, v6, vcc
	v_cmp_ne_u32_e64 s[0:1], 0, v8
	v_cmp_le_u32_e32 vcc, s25, v6
	v_cndmask_b32_e64 v8, v12, v10, s[0:1]
	v_cndmask_b32_e64 v10, 0, -1, vcc
	v_cmp_le_u32_e32 vcc, s24, v5
	v_cndmask_b32_e64 v5, 0, -1, vcc
	v_cmp_eq_u32_e32 vcc, s25, v6
	v_cndmask_b32_e32 v5, v10, v5, vcc
	v_cmp_ne_u32_e32 vcc, 0, v5
	v_cndmask_b32_e64 v5, v11, v9, s[0:1]
	v_cndmask_b32_e32 v43, v7, v8, vcc
	v_cndmask_b32_e32 v42, v2, v5, vcc
.LBB0_4:                                ;   in Loop: Header=BB0_2 Depth=1
	s_andn2_saveexec_b64 s[0:1], s[26:27]
	s_cbranch_execz .LBB0_6
; %bb.5:                                ;   in Loop: Header=BB0_2 Depth=1
	v_cvt_f32_u32_e32 v2, s24
	s_sub_i32 s26, 0, s24
	v_mov_b32_e32 v43, v1
	v_rcp_iflag_f32_e32 v2, v2
	v_mul_f32_e32 v2, 0x4f7ffffe, v2
	v_cvt_u32_f32_e32 v2, v2
	v_mul_lo_u32 v5, s26, v2
	v_mul_hi_u32 v5, v2, v5
	v_add_u32_e32 v2, v2, v5
	v_mul_hi_u32 v2, v3, v2
	v_mul_lo_u32 v5, v2, s24
	v_add_u32_e32 v6, 1, v2
	v_sub_u32_e32 v5, v3, v5
	v_subrev_u32_e32 v7, s24, v5
	v_cmp_le_u32_e32 vcc, s24, v5
	v_cndmask_b32_e32 v5, v5, v7, vcc
	v_cndmask_b32_e32 v2, v2, v6, vcc
	v_add_u32_e32 v6, 1, v2
	v_cmp_le_u32_e32 vcc, s24, v5
	v_cndmask_b32_e32 v42, v2, v6, vcc
.LBB0_6:                                ;   in Loop: Header=BB0_2 Depth=1
	s_or_b64 exec, exec, s[0:1]
	v_mul_lo_u32 v2, v43, s24
	v_mul_lo_u32 v7, v42, s25
	v_mad_u64_u32 v[5:6], s[0:1], v42, s24, 0
	s_load_dwordx2 s[0:1], s[6:7], 0x0
	s_load_dwordx2 s[24:25], s[2:3], 0x0
	v_add3_u32 v2, v6, v7, v2
	v_sub_co_u32_e32 v3, vcc, v3, v5
	v_subb_co_u32_e32 v2, vcc, v4, v2, vcc
	s_waitcnt lgkmcnt(0)
	v_mul_lo_u32 v4, s0, v2
	v_mul_lo_u32 v5, s1, v3
	v_mad_u64_u32 v[49:50], s[0:1], s0, v3, v[49:50]
	v_mul_lo_u32 v2, s24, v2
	v_mul_lo_u32 v6, s25, v3
	v_mad_u64_u32 v[40:41], s[0:1], s24, v3, v[40:41]
	s_add_u32 s22, s22, 1
	s_addc_u32 s23, s23, 0
	s_add_u32 s2, s2, 8
	v_add3_u32 v41, v6, v41, v2
	s_addc_u32 s3, s3, 0
	v_mov_b32_e32 v2, s14
	s_add_u32 s6, s6, 8
	v_mov_b32_e32 v3, s15
	s_addc_u32 s7, s7, 0
	v_cmp_ge_u64_e32 vcc, s[22:23], v[2:3]
	s_add_u32 s20, s20, 8
	v_add3_u32 v50, v5, v50, v4
	s_addc_u32 s21, s21, 0
	s_cbranch_vccnz .LBB0_8
; %bb.7:                                ;   in Loop: Header=BB0_2 Depth=1
	v_mov_b32_e32 v3, v42
	v_mov_b32_e32 v4, v43
	s_branch .LBB0_2
.LBB0_8:
	s_lshl_b64 s[14:15], s[14:15], 3
	s_load_dwordx2 s[0:1], s[4:5], 0x28
	s_add_u32 s2, s18, s14
	s_mov_b32 s3, 0x3a83a84
	v_mul_hi_u32 v1, v0, s3
	s_addc_u32 s3, s19, s15
	s_load_dwordx2 s[2:3], s[2:3], 0x0
	s_waitcnt lgkmcnt(0)
	v_cmp_gt_u64_e32 vcc, s[0:1], v[42:43]
	v_mul_u32_u24_e32 v1, 0x46, v1
	v_sub_u32_e32 v45, v0, v1
	v_mov_b32_e32 v44, 0
                                        ; implicit-def: $vgpr2_vgpr3
                                        ; implicit-def: $vgpr38_vgpr39
                                        ; implicit-def: $vgpr6_vgpr7
                                        ; implicit-def: $vgpr26_vgpr27
                                        ; implicit-def: $vgpr18_vgpr19
                                        ; implicit-def: $vgpr34_vgpr35
                                        ; implicit-def: $vgpr14_vgpr15
                                        ; implicit-def: $vgpr30_vgpr31
                                        ; implicit-def: $vgpr10_vgpr11
                                        ; implicit-def: $vgpr22_vgpr23
	s_and_saveexec_b64 s[4:5], vcc
	s_cbranch_execz .LBB0_12
; %bb.9:
	v_cmp_gt_u32_e64 s[0:1], 49, v45
                                        ; implicit-def: $vgpr20_vgpr21
                                        ; implicit-def: $vgpr8_vgpr9
                                        ; implicit-def: $vgpr28_vgpr29
                                        ; implicit-def: $vgpr12_vgpr13
                                        ; implicit-def: $vgpr32_vgpr33
                                        ; implicit-def: $vgpr16_vgpr17
                                        ; implicit-def: $vgpr24_vgpr25
                                        ; implicit-def: $vgpr4_vgpr5
                                        ; implicit-def: $vgpr36_vgpr37
                                        ; implicit-def: $vgpr0_vgpr1
	s_and_saveexec_b64 s[6:7], s[0:1]
	s_cbranch_execz .LBB0_11
; %bb.10:
	s_add_u32 s0, s16, s14
	s_addc_u32 s1, s17, s15
	s_load_dwordx2 s[0:1], s[0:1], 0x0
	v_mov_b32_e32 v4, s9
	v_mov_b32_e32 v46, 0
	s_waitcnt lgkmcnt(0)
	v_mul_lo_u32 v2, s1, v42
	v_mul_lo_u32 v3, s0, v43
	v_mad_u64_u32 v[0:1], s[0:1], s0, v42, 0
	v_add3_u32 v1, v1, v3, v2
	v_lshlrev_b64 v[0:1], 4, v[0:1]
	v_add_co_u32_e64 v2, s[0:1], s8, v0
	v_addc_co_u32_e64 v3, s[0:1], v4, v1, s[0:1]
	v_lshlrev_b64 v[0:1], 4, v[49:50]
	v_add_co_u32_e64 v2, s[0:1], v2, v0
	v_addc_co_u32_e64 v3, s[0:1], v3, v1, s[0:1]
	;; [unrolled: 3-line block ×3, first 2 shown]
	s_movk_i32 s0, 0x1000
	v_add_co_u32_e64 v50, s[0:1], s0, v48
	global_load_dwordx4 v[20:23], v[48:49], off
	global_load_dwordx4 v[8:11], v[48:49], off offset:784
	global_load_dwordx4 v[28:31], v[48:49], off offset:1568
	;; [unrolled: 1-line block ×3, first 2 shown]
	v_addc_co_u32_e64 v51, s[0:1], 0, v49, s[0:1]
	global_load_dwordx4 v[32:35], v[48:49], off offset:3136
	global_load_dwordx4 v[16:19], v[48:49], off offset:3920
	global_load_dwordx4 v[24:27], v[50:51], off offset:608
	global_load_dwordx4 v[4:7], v[50:51], off offset:1392
	global_load_dwordx4 v[36:39], v[50:51], off offset:2176
	global_load_dwordx4 v[0:3], v[50:51], off offset:2960
.LBB0_11:
	s_or_b64 exec, exec, s[6:7]
	v_mov_b32_e32 v44, v45
.LBB0_12:
	s_or_b64 exec, exec, s[4:5]
	s_mov_b32 s0, 0xaaaaaaab
	v_mul_hi_u32 v46, v47, s0
	v_cmp_gt_u32_e64 s[0:1], 49, v45
	v_lshrrev_b32_e32 v46, 1, v46
	v_lshl_add_u32 v46, v46, 1, v46
	v_sub_u32_e32 v46, v47, v46
	v_mul_u32_u24_e32 v46, 0x1ea, v46
	v_lshlrev_b32_e32 v46, 4, v46
	s_and_saveexec_b64 s[4:5], s[0:1]
	s_cbranch_execz .LBB0_14
; %bb.13:
	s_waitcnt vmcnt(3)
	v_add_f64 v[47:48], v[26:27], v[34:35]
	s_waitcnt vmcnt(1)
	v_add_f64 v[49:50], v[38:39], v[30:31]
	v_add_f64 v[59:60], v[30:31], v[22:23]
	;; [unrolled: 1-line block ×4, first 2 shown]
	v_add_f64 v[55:56], v[30:31], -v[34:35]
	v_add_f64 v[63:64], v[38:39], -v[26:27]
	;; [unrolled: 1-line block ×3, first 2 shown]
	v_fma_f64 v[47:48], v[47:48], -0.5, v[22:23]
	v_fma_f64 v[22:23], v[49:50], -0.5, v[22:23]
	v_add_f64 v[49:50], v[28:29], v[20:21]
	v_add_f64 v[59:60], v[34:35], v[59:60]
	v_fma_f64 v[51:52], v[51:52], -0.5, v[20:21]
	v_fma_f64 v[20:21], v[53:54], -0.5, v[20:21]
	v_add_f64 v[53:54], v[34:35], -v[30:31]
	v_add_f64 v[61:62], v[28:29], -v[32:33]
	;; [unrolled: 1-line block ×4, first 2 shown]
	v_add_f64 v[49:50], v[32:33], v[49:50]
	v_add_f64 v[59:60], v[26:27], v[59:60]
	v_add_f64 v[32:33], v[32:33], -v[24:25]
	v_add_f64 v[34:35], v[34:35], -v[26:27]
	;; [unrolled: 1-line block ×4, first 2 shown]
	s_waitcnt vmcnt(0)
	v_add_f64 v[67:68], v[0:1], v[12:13]
	v_add_f64 v[69:70], v[2:3], v[14:15]
	;; [unrolled: 1-line block ×3, first 2 shown]
	v_add_f64 v[24:25], v[24:25], -v[36:37]
	v_add_f64 v[38:39], v[38:39], v[59:60]
	v_add_f64 v[59:60], v[0:1], -v[4:5]
	v_add_f64 v[71:72], v[14:15], -v[18:19]
	;; [unrolled: 1-line block ×3, first 2 shown]
	v_fma_f64 v[67:68], v[67:68], -0.5, v[8:9]
	v_add_f64 v[75:76], v[12:13], -v[0:1]
	v_add_f64 v[36:37], v[36:37], v[49:50]
	v_add_f64 v[49:50], v[63:64], v[55:56]
	v_add_f64 v[55:56], v[12:13], -v[16:17]
	v_add_f64 v[63:64], v[6:7], v[18:19]
	v_add_f64 v[26:27], v[26:27], v[53:54]
	v_add_f64 v[53:54], v[4:5], -v[0:1]
	v_fma_f64 v[69:70], v[69:70], -0.5, v[10:11]
	v_add_f64 v[71:72], v[73:74], v[71:72]
	v_add_f64 v[73:74], v[14:15], -v[2:3]
	s_mov_b32 s8, 0x134454ff
	v_add_f64 v[55:56], v[59:60], v[55:56]
	v_add_f64 v[59:60], v[4:5], v[16:17]
	v_fma_f64 v[63:64], v[63:64], -0.5, v[10:11]
	v_add_f64 v[10:11], v[14:15], v[10:11]
	v_add_f64 v[14:15], v[18:19], -v[14:15]
	s_mov_b32 s9, 0xbfee6f0e
	s_mov_b32 s15, 0x3fee6f0e
	;; [unrolled: 1-line block ×4, first 2 shown]
	v_fma_f64 v[59:60], v[59:60], -0.5, v[8:9]
	v_add_f64 v[8:9], v[12:13], v[8:9]
	v_add_f64 v[12:13], v[16:17], -v[12:13]
	s_mov_b32 s7, 0xbfe2cf23
	s_mov_b32 s17, 0x3fe2cf23
	;; [unrolled: 1-line block ×3, first 2 shown]
	v_add_f64 v[10:11], v[18:19], v[10:11]
	v_add_f64 v[18:19], v[18:19], -v[6:7]
	s_mov_b32 s0, 0x372fe950
	s_mov_b32 s1, 0x3fd3c6ef
	v_add_f64 v[12:13], v[53:54], v[12:13]
	v_add_f64 v[53:54], v[6:7], -v[2:3]
	v_add_f64 v[8:9], v[16:17], v[8:9]
	v_add_f64 v[16:17], v[16:17], -v[4:5]
	s_mov_b32 s18, 0x9b97f4a8
	s_mov_b32 s19, 0xbfe9e377
	;; [unrolled: 1-line block ×4, first 2 shown]
	v_add_f64 v[6:7], v[6:7], v[10:11]
	v_add_f64 v[14:15], v[53:54], v[14:15]
	v_fma_f64 v[53:54], v[32:33], s[14:15], v[22:23]
	v_fma_f64 v[22:23], v[32:33], s[8:9], v[22:23]
	v_add_f64 v[24:25], v[24:25], v[28:29]
	v_fma_f64 v[28:29], v[34:35], s[8:9], v[20:21]
	v_fma_f64 v[20:21], v[34:35], s[14:15], v[20:21]
	v_add_f64 v[8:9], v[4:5], v[8:9]
	v_add_f64 v[2:3], v[2:3], v[6:7]
	v_fma_f64 v[53:54], v[57:58], s[6:7], v[53:54]
	v_fma_f64 v[22:23], v[57:58], s[16:17], v[22:23]
	;; [unrolled: 1-line block ×4, first 2 shown]
	v_add_f64 v[0:1], v[0:1], v[8:9]
	v_fma_f64 v[53:54], v[26:27], s[0:1], v[53:54]
	v_fma_f64 v[26:27], v[26:27], s[0:1], v[22:23]
	;; [unrolled: 1-line block ×20, first 2 shown]
	v_mul_f64 v[10:11], v[14:15], s[8:9]
	v_fma_f64 v[69:70], v[32:33], s[6:7], v[69:70]
	v_fma_f64 v[32:33], v[32:33], s[16:17], v[47:48]
	;; [unrolled: 1-line block ×11, first 2 shown]
	v_add_f64 v[55:56], v[65:66], v[61:62]
	v_fma_f64 v[16:17], v[71:72], s[0:1], v[16:17]
	v_fma_f64 v[65:66], v[24:25], s[0:1], v[20:21]
	v_add_f64 v[20:21], v[2:3], v[38:39]
	v_mul_f64 v[57:58], v[47:48], s[18:19]
	v_mul_f64 v[47:48], v[47:48], s[6:7]
	;; [unrolled: 1-line block ×3, first 2 shown]
	v_fma_f64 v[57:58], v[32:33], s[16:17], v[57:58]
	v_fma_f64 v[61:62], v[32:33], s[18:19], v[47:48]
	v_mul_f64 v[32:33], v[67:68], s[20:21]
	v_mul_f64 v[47:48], v[67:68], s[8:9]
	s_mov_b32 s19, 0x3fe9e377
	v_fma_f64 v[67:68], v[12:13], s[0:1], v[10:11]
	v_add_f64 v[4:5], v[59:60], -v[57:58]
	v_fma_f64 v[32:33], v[22:23], s[14:15], v[32:33]
	v_fma_f64 v[63:64], v[22:23], s[20:21], v[47:48]
	;; [unrolled: 1-line block ×4, first 2 shown]
	v_mul_f64 v[30:31], v[12:13], s[14:15]
	v_fma_f64 v[51:52], v[24:25], s[0:1], v[28:29]
	v_add_f64 v[28:29], v[59:60], v[57:58]
	v_add_f64 v[10:11], v[65:66], -v[67:68]
	v_add_f64 v[8:9], v[53:54], -v[32:33]
	v_add_f64 v[32:33], v[53:54], v[32:33]
	v_fma_f64 v[22:23], v[34:35], s[16:17], v[22:23]
	v_fma_f64 v[34:35], v[34:35], s[6:7], v[47:48]
	v_mul_f64 v[47:48], v[18:19], s[16:17]
	v_fma_f64 v[30:31], v[14:15], s[0:1], v[30:31]
	v_add_f64 v[14:15], v[36:37], -v[0:1]
	v_fma_f64 v[69:70], v[55:56], s[0:1], v[22:23]
	v_fma_f64 v[34:35], v[55:56], s[0:1], v[34:35]
	;; [unrolled: 1-line block ×4, first 2 shown]
	v_add_f64 v[18:19], v[0:1], v[36:37]
	v_add_f64 v[36:37], v[26:27], v[30:31]
	v_add_f64 v[12:13], v[26:27], -v[30:31]
	v_add_f64 v[30:31], v[51:52], v[63:64]
	v_add_f64 v[26:27], v[69:70], v[61:62]
	v_add_f64 v[16:17], v[38:39], -v[2:3]
	v_add_f64 v[24:25], v[49:50], -v[47:48]
	v_add_f64 v[49:50], v[49:50], v[47:48]
	v_add_f64 v[47:48], v[34:35], v[55:56]
	v_add_f64 v[22:23], v[34:35], -v[55:56]
	v_add_f64 v[34:35], v[65:66], v[67:68]
	v_mul_u32_u24_e32 v0, 10, v45
	v_lshlrev_b32_e32 v0, 4, v0
	v_add3_u32 v0, 0, v0, v46
	v_add_f64 v[2:3], v[69:70], -v[61:62]
	v_add_f64 v[6:7], v[51:52], -v[63:64]
	ds_write_b128 v0, v[18:21]
	ds_write_b128 v0, v[47:50] offset:16
	ds_write_b128 v0, v[34:37] offset:32
	;; [unrolled: 1-line block ×9, first 2 shown]
.LBB0_14:
	s_or_b64 exec, exec, s[4:5]
	s_movk_i32 s0, 0xcd
	s_waitcnt vmcnt(0)
	v_mul_lo_u16_sdwa v0, v45, s0 dst_sel:DWORD dst_unused:UNUSED_PAD src0_sel:BYTE_0 src1_sel:DWORD
	v_lshrrev_b16_e32 v71, 11, v0
	v_mul_lo_u16_e32 v0, 10, v71
	v_sub_u16_e32 v72, v45, v0
	v_mov_b32_e32 v0, 6
	v_mul_u32_u24_sdwa v0, v72, v0 dst_sel:DWORD dst_unused:UNUSED_PAD src0_sel:BYTE_0 src1_sel:DWORD
	v_lshlrev_b32_e32 v0, 4, v0
	s_waitcnt lgkmcnt(0)
	s_barrier
	global_load_dwordx4 v[2:5], v0, s[12:13]
	global_load_dwordx4 v[6:9], v0, s[12:13] offset:16
	global_load_dwordx4 v[10:13], v0, s[12:13] offset:32
	;; [unrolled: 1-line block ×5, first 2 shown]
	v_lshlrev_b32_e32 v1, 4, v45
	v_add3_u32 v0, 0, v46, v1
	v_add3_u32 v1, 0, v1, v46
	ds_read_b128 v[26:29], v0
	ds_read_b128 v[30:33], v1 offset:1120
	ds_read_b128 v[34:37], v1 offset:2240
	;; [unrolled: 1-line block ×6, first 2 shown]
	s_mov_b32 s0, 0x37e14327
	s_mov_b32 s4, 0x36b3c0b5
	;; [unrolled: 1-line block ×20, first 2 shown]
	s_movk_i32 s26, 0x460
	s_waitcnt vmcnt(0) lgkmcnt(0)
	s_barrier
	v_mul_f64 v[38:39], v[32:33], v[4:5]
	v_mul_f64 v[4:5], v[30:31], v[4:5]
	;; [unrolled: 1-line block ×8, first 2 shown]
	v_fma_f64 v[30:31], v[30:31], v[2:3], v[38:39]
	v_fma_f64 v[2:3], v[32:33], v[2:3], -v[4:5]
	v_mul_f64 v[4:5], v[57:58], v[24:25]
	v_mul_f64 v[24:25], v[55:56], v[24:25]
	;; [unrolled: 1-line block ×4, first 2 shown]
	v_fma_f64 v[32:33], v[34:35], v[6:7], v[63:64]
	v_fma_f64 v[6:7], v[36:37], v[6:7], -v[8:9]
	v_fma_f64 v[8:9], v[59:60], v[18:19], v[69:70]
	v_fma_f64 v[18:19], v[61:62], v[18:19], -v[20:21]
	;; [unrolled: 2-line block ×5, first 2 shown]
	v_add_f64 v[16:17], v[30:31], v[8:9]
	v_add_f64 v[24:25], v[2:3], v[18:19]
	v_add_f64 v[8:9], v[30:31], -v[8:9]
	v_add_f64 v[2:3], v[2:3], -v[18:19]
	v_add_f64 v[18:19], v[32:33], v[4:5]
	v_add_f64 v[30:31], v[6:7], v[12:13]
	v_add_f64 v[4:5], v[32:33], -v[4:5]
	v_add_f64 v[6:7], v[6:7], -v[12:13]
	v_add_f64 v[12:13], v[20:21], v[22:23]
	v_add_f64 v[32:33], v[10:11], v[14:15]
	v_add_f64 v[20:21], v[22:23], -v[20:21]
	v_add_f64 v[10:11], v[14:15], -v[10:11]
	v_add_f64 v[14:15], v[18:19], v[16:17]
	v_add_f64 v[22:23], v[30:31], v[24:25]
	v_add_f64 v[34:35], v[18:19], -v[16:17]
	v_add_f64 v[36:37], v[30:31], -v[24:25]
	v_add_f64 v[16:17], v[16:17], -v[12:13]
	v_add_f64 v[24:25], v[24:25], -v[32:33]
	;; [unrolled: 1-line block ×3, first 2 shown]
	v_add_f64 v[47:48], v[10:11], v[6:7]
	v_add_f64 v[49:50], v[20:21], -v[4:5]
	v_add_f64 v[51:52], v[10:11], -v[6:7]
	v_add_f64 v[12:13], v[12:13], v[14:15]
	v_add_f64 v[14:15], v[32:33], v[22:23]
	v_add_f64 v[53:54], v[4:5], -v[8:9]
	v_add_f64 v[6:7], v[6:7], -v[2:3]
	;; [unrolled: 1-line block ×3, first 2 shown]
	v_add_f64 v[38:39], v[20:21], v[4:5]
	v_add_f64 v[20:21], v[8:9], -v[20:21]
	v_add_f64 v[10:11], v[2:3], -v[10:11]
	v_add_f64 v[22:23], v[47:48], v[2:3]
	v_mul_f64 v[16:17], v[16:17], s[0:1]
	v_mul_f64 v[24:25], v[24:25], s[0:1]
	;; [unrolled: 1-line block ×5, first 2 shown]
	v_add_f64 v[2:3], v[26:27], v[12:13]
	v_add_f64 v[4:5], v[28:29], v[14:15]
	v_mul_f64 v[51:52], v[53:54], s[6:7]
	v_mul_f64 v[55:56], v[6:7], s[6:7]
	v_add_f64 v[8:9], v[38:39], v[8:9]
	v_mul_f64 v[38:39], v[30:31], s[4:5]
	v_fma_f64 v[18:19], v[18:19], s[4:5], v[16:17]
	v_fma_f64 v[26:27], v[30:31], s[4:5], v[24:25]
	v_fma_f64 v[28:29], v[34:35], s[18:19], -v[32:33]
	v_fma_f64 v[16:17], v[34:35], s[20:21], -v[16:17]
	v_fma_f64 v[32:33], v[20:21], s[22:23], v[47:48]
	v_fma_f64 v[34:35], v[10:11], s[22:23], v[49:50]
	v_fma_f64 v[12:13], v[12:13], s[8:9], v[2:3]
	v_fma_f64 v[14:15], v[14:15], s[8:9], v[4:5]
	v_fma_f64 v[24:25], v[36:37], s[20:21], -v[24:25]
	v_fma_f64 v[6:7], v[6:7], s[6:7], -v[49:50]
	;; [unrolled: 1-line block ×6, first 2 shown]
	v_fma_f64 v[32:33], v[8:9], s[14:15], v[32:33]
	v_fma_f64 v[34:35], v[22:23], s[14:15], v[34:35]
	v_add_f64 v[49:50], v[18:19], v[12:13]
	v_add_f64 v[51:52], v[26:27], v[14:15]
	v_fma_f64 v[38:39], v[22:23], s[14:15], v[6:7]
	v_fma_f64 v[47:48], v[8:9], s[14:15], v[20:21]
	;; [unrolled: 1-line block ×3, first 2 shown]
	v_add_f64 v[26:27], v[16:17], v[12:13]
	v_add_f64 v[24:25], v[24:25], v[14:15]
	v_fma_f64 v[36:37], v[8:9], s[14:15], v[36:37]
	v_add_f64 v[18:19], v[28:29], v[12:13]
	v_add_f64 v[20:21], v[30:31], v[14:15]
	;; [unrolled: 1-line block ×3, first 2 shown]
	v_add_f64 v[8:9], v[51:52], -v[32:33]
	v_mov_b32_e32 v31, 4
	v_add_f64 v[10:11], v[22:23], v[26:27]
	v_add_f64 v[12:13], v[24:25], -v[47:48]
	v_add_f64 v[22:23], v[26:27], -v[22:23]
	;; [unrolled: 1-line block ×3, first 2 shown]
	v_add_f64 v[16:17], v[36:37], v[20:21]
	v_add_f64 v[18:19], v[38:39], v[18:19]
	v_add_f64 v[20:21], v[20:21], -v[36:37]
	v_add_f64 v[24:25], v[47:48], v[24:25]
	v_add_f64 v[26:27], v[49:50], -v[34:35]
	v_add_f64 v[28:29], v[32:33], v[51:52]
	v_mad_u32_u24 v30, v71, s26, 0
	v_lshlrev_b32_sdwa v31, v31, v72 dst_sel:DWORD dst_unused:UNUSED_PAD src0_sel:DWORD src1_sel:BYTE_0
	v_add3_u32 v30, v30, v31, v46
	ds_write_b128 v30, v[2:5]
	ds_write_b128 v30, v[6:9] offset:160
	ds_write_b128 v30, v[10:13] offset:320
	;; [unrolled: 1-line block ×6, first 2 shown]
	s_waitcnt lgkmcnt(0)
	s_barrier
	s_and_saveexec_b64 s[26:27], vcc
	s_cbranch_execz .LBB0_16
; %bb.15:
	v_mul_u32_u24_e32 v2, 6, v45
	v_lshlrev_b32_e32 v26, 4, v2
	global_load_dwordx4 v[2:5], v26, s[12:13] offset:1008
	global_load_dwordx4 v[6:9], v26, s[12:13] offset:992
	;; [unrolled: 1-line block ×6, first 2 shown]
	v_mul_lo_u32 v62, s3, v42
	v_mul_lo_u32 v43, s2, v43
	v_mad_u64_u32 v[38:39], s[2:3], s2, v42, 0
	ds_read_b128 v[26:29], v1 offset:3360
	ds_read_b128 v[30:33], v1 offset:2240
	;; [unrolled: 1-line block ×6, first 2 shown]
	ds_read_b128 v[58:61], v0
	v_mov_b32_e32 v42, s11
	v_add3_u32 v39, v39, v43, v62
	v_lshlrev_b64 v[38:39], 4, v[38:39]
	v_lshlrev_b64 v[0:1], 4, v[40:41]
	v_add_co_u32_e32 v38, vcc, s10, v38
	v_addc_co_u32_e32 v39, vcc, v42, v39, vcc
	v_mov_b32_e32 v45, 0
	v_add_co_u32_e32 v66, vcc, v38, v0
	v_lshlrev_b64 v[40:41], 4, v[44:45]
	v_addc_co_u32_e32 v67, vcc, v39, v1, vcc
	s_waitcnt vmcnt(5) lgkmcnt(4)
	v_mul_f64 v[0:1], v[4:5], v[36:37]
	s_waitcnt vmcnt(4)
	v_mul_f64 v[38:39], v[8:9], v[28:29]
	s_waitcnt vmcnt(3)
	v_mul_f64 v[42:43], v[12:13], v[32:33]
	s_waitcnt vmcnt(2) lgkmcnt(3)
	v_mul_f64 v[44:45], v[16:17], v[48:49]
	s_waitcnt vmcnt(1) lgkmcnt(1)
	v_mul_f64 v[62:63], v[20:21], v[56:57]
	s_waitcnt vmcnt(0)
	v_mul_f64 v[64:65], v[24:25], v[52:53]
	v_mul_f64 v[8:9], v[26:27], v[8:9]
	;; [unrolled: 1-line block ×7, first 2 shown]
	v_fma_f64 v[0:1], v[2:3], v[34:35], v[0:1]
	v_fma_f64 v[26:27], v[6:7], v[26:27], v[38:39]
	v_fma_f64 v[30:31], v[10:11], v[30:31], v[42:43]
	v_fma_f64 v[34:35], v[14:15], v[46:47], v[44:45]
	v_fma_f64 v[38:39], v[18:19], v[54:55], v[62:63]
	v_fma_f64 v[42:43], v[22:23], v[50:51], v[64:65]
	v_fma_f64 v[6:7], v[6:7], v[28:29], -v[8:9]
	v_fma_f64 v[2:3], v[2:3], v[36:37], -v[4:5]
	;; [unrolled: 1-line block ×6, first 2 shown]
	v_add_f64 v[14:15], v[0:1], -v[26:27]
	v_add_f64 v[16:17], v[30:31], -v[34:35]
	v_add_f64 v[0:1], v[0:1], v[26:27]
	v_add_f64 v[26:27], v[30:31], v[34:35]
	;; [unrolled: 1-line block ×4, first 2 shown]
	v_add_co_u32_e32 v28, vcc, v66, v40
	v_add_f64 v[24:25], v[10:11], v[12:13]
	v_addc_co_u32_e32 v29, vcc, v67, v41, vcc
	v_add_f64 v[18:19], v[38:39], -v[42:43]
	v_add_f64 v[20:21], v[2:3], v[6:7]
	v_add_f64 v[2:3], v[2:3], -v[6:7]
	v_add_f64 v[4:5], v[4:5], -v[8:9]
	;; [unrolled: 1-line block ×3, first 2 shown]
	v_add_f64 v[34:35], v[22:23], v[24:25]
	v_add_f64 v[40:41], v[26:27], v[30:31]
	;; [unrolled: 1-line block ×3, first 2 shown]
	v_add_f64 v[10:11], v[14:15], -v[16:17]
	v_add_f64 v[12:13], v[18:19], -v[14:15]
	v_add_f64 v[14:15], v[20:21], -v[22:23]
	v_add_f64 v[32:33], v[24:25], -v[20:21]
	v_add_f64 v[38:39], v[30:31], -v[0:1]
	v_add_f64 v[42:43], v[2:3], v[4:5]
	v_add_f64 v[44:45], v[2:3], -v[4:5]
	v_add_f64 v[16:17], v[16:17], -v[18:19]
	;; [unrolled: 1-line block ×3, first 2 shown]
	v_add_f64 v[20:21], v[20:21], v[34:35]
	v_add_f64 v[34:35], v[0:1], v[40:41]
	v_add_f64 v[36:37], v[0:1], -v[26:27]
	v_add_f64 v[46:47], v[6:7], -v[2:3]
	;; [unrolled: 1-line block ×4, first 2 shown]
	v_mul_f64 v[10:11], v[10:11], s[16:17]
	v_mul_f64 v[26:27], v[32:33], s[0:1]
	;; [unrolled: 1-line block ×3, first 2 shown]
	v_add_f64 v[6:7], v[42:43], v[6:7]
	v_mul_f64 v[38:39], v[44:45], s[16:17]
	v_mul_f64 v[40:41], v[16:17], s[6:7]
	;; [unrolled: 1-line block ×3, first 2 shown]
	s_waitcnt lgkmcnt(0)
	v_add_f64 v[2:3], v[60:61], v[20:21]
	v_add_f64 v[0:1], v[58:59], v[34:35]
	;; [unrolled: 1-line block ×3, first 2 shown]
	v_mul_f64 v[18:19], v[14:15], s[4:5]
	v_mul_f64 v[30:31], v[36:37], s[4:5]
	v_fma_f64 v[44:45], v[12:13], s[22:23], v[10:11]
	v_fma_f64 v[14:15], v[14:15], s[4:5], v[26:27]
	v_fma_f64 v[36:37], v[36:37], s[4:5], v[32:33]
	v_fma_f64 v[48:49], v[46:47], s[22:23], v[38:39]
	v_fma_f64 v[12:13], v[12:13], s[24:25], -v[40:41]
	v_fma_f64 v[26:27], v[22:23], s[20:21], -v[26:27]
	;; [unrolled: 1-line block ×4, first 2 shown]
	v_fma_f64 v[16:17], v[20:21], s[8:9], v[2:3]
	v_fma_f64 v[20:21], v[34:35], s[8:9], v[0:1]
	v_fma_f64 v[32:33], v[24:25], s[20:21], -v[32:33]
	v_fma_f64 v[18:19], v[22:23], s[18:19], -v[18:19]
	;; [unrolled: 1-line block ×4, first 2 shown]
	v_fma_f64 v[24:25], v[8:9], s[14:15], v[44:45]
	v_fma_f64 v[30:31], v[6:7], s[14:15], v[48:49]
	;; [unrolled: 1-line block ×4, first 2 shown]
	v_add_f64 v[40:41], v[14:15], v[16:17]
	v_add_f64 v[36:37], v[36:37], v[20:21]
	;; [unrolled: 1-line block ×4, first 2 shown]
	v_fma_f64 v[38:39], v[8:9], s[14:15], v[10:11]
	v_add_f64 v[16:17], v[18:19], v[16:17]
	v_fma_f64 v[43:44], v[6:7], s[14:15], v[4:5]
	v_add_f64 v[45:46], v[22:23], v[20:21]
	v_add_f64 v[6:7], v[24:25], v[40:41]
	v_add_f64 v[4:5], v[36:37], -v[30:31]
	v_add_f64 v[10:11], v[12:13], v[26:27]
	v_add_f64 v[22:23], v[26:27], -v[12:13]
	v_add_f64 v[26:27], v[40:41], -v[24:25]
	v_add_f64 v[24:25], v[30:31], v[36:37]
	v_add_f64 v[20:21], v[34:35], v[32:33]
	v_add_f64 v[14:15], v[16:17], -v[38:39]
	v_add_f64 v[18:19], v[38:39], v[16:17]
	v_add_f64 v[16:17], v[45:46], -v[43:44]
	v_add_f64 v[12:13], v[43:44], v[45:46]
	v_add_f64 v[8:9], v[32:33], -v[34:35]
	v_add_co_u32_e32 v42, vcc, 0x1000, v28
	v_addc_co_u32_e32 v43, vcc, 0, v29, vcc
	global_store_dwordx4 v[28:29], v[0:3], off
	global_store_dwordx4 v[28:29], v[24:27], off offset:1120
	global_store_dwordx4 v[28:29], v[20:23], off offset:2240
	;; [unrolled: 1-line block ×6, first 2 shown]
.LBB0_16:
	s_endpgm
	.section	.rodata,"a",@progbits
	.p2align	6, 0x0
	.amdhsa_kernel fft_rtc_back_len490_factors_10_7_7_wgs_210_tpt_70_dp_op_CI_CI_unitstride_sbrr_dirReg
		.amdhsa_group_segment_fixed_size 0
		.amdhsa_private_segment_fixed_size 0
		.amdhsa_kernarg_size 104
		.amdhsa_user_sgpr_count 6
		.amdhsa_user_sgpr_private_segment_buffer 1
		.amdhsa_user_sgpr_dispatch_ptr 0
		.amdhsa_user_sgpr_queue_ptr 0
		.amdhsa_user_sgpr_kernarg_segment_ptr 1
		.amdhsa_user_sgpr_dispatch_id 0
		.amdhsa_user_sgpr_flat_scratch_init 0
		.amdhsa_user_sgpr_private_segment_size 0
		.amdhsa_uses_dynamic_stack 0
		.amdhsa_system_sgpr_private_segment_wavefront_offset 0
		.amdhsa_system_sgpr_workgroup_id_x 1
		.amdhsa_system_sgpr_workgroup_id_y 0
		.amdhsa_system_sgpr_workgroup_id_z 0
		.amdhsa_system_sgpr_workgroup_info 0
		.amdhsa_system_vgpr_workitem_id 0
		.amdhsa_next_free_vgpr 77
		.amdhsa_next_free_sgpr 28
		.amdhsa_reserve_vcc 1
		.amdhsa_reserve_flat_scratch 0
		.amdhsa_float_round_mode_32 0
		.amdhsa_float_round_mode_16_64 0
		.amdhsa_float_denorm_mode_32 3
		.amdhsa_float_denorm_mode_16_64 3
		.amdhsa_dx10_clamp 1
		.amdhsa_ieee_mode 1
		.amdhsa_fp16_overflow 0
		.amdhsa_exception_fp_ieee_invalid_op 0
		.amdhsa_exception_fp_denorm_src 0
		.amdhsa_exception_fp_ieee_div_zero 0
		.amdhsa_exception_fp_ieee_overflow 0
		.amdhsa_exception_fp_ieee_underflow 0
		.amdhsa_exception_fp_ieee_inexact 0
		.amdhsa_exception_int_div_zero 0
	.end_amdhsa_kernel
	.text
.Lfunc_end0:
	.size	fft_rtc_back_len490_factors_10_7_7_wgs_210_tpt_70_dp_op_CI_CI_unitstride_sbrr_dirReg, .Lfunc_end0-fft_rtc_back_len490_factors_10_7_7_wgs_210_tpt_70_dp_op_CI_CI_unitstride_sbrr_dirReg
                                        ; -- End function
	.section	.AMDGPU.csdata,"",@progbits
; Kernel info:
; codeLenInByte = 5300
; NumSgprs: 32
; NumVgprs: 77
; ScratchSize: 0
; MemoryBound: 1
; FloatMode: 240
; IeeeMode: 1
; LDSByteSize: 0 bytes/workgroup (compile time only)
; SGPRBlocks: 3
; VGPRBlocks: 19
; NumSGPRsForWavesPerEU: 32
; NumVGPRsForWavesPerEU: 77
; Occupancy: 3
; WaveLimiterHint : 1
; COMPUTE_PGM_RSRC2:SCRATCH_EN: 0
; COMPUTE_PGM_RSRC2:USER_SGPR: 6
; COMPUTE_PGM_RSRC2:TRAP_HANDLER: 0
; COMPUTE_PGM_RSRC2:TGID_X_EN: 1
; COMPUTE_PGM_RSRC2:TGID_Y_EN: 0
; COMPUTE_PGM_RSRC2:TGID_Z_EN: 0
; COMPUTE_PGM_RSRC2:TIDIG_COMP_CNT: 0
	.type	__hip_cuid_f648136dc20b66c4,@object ; @__hip_cuid_f648136dc20b66c4
	.section	.bss,"aw",@nobits
	.globl	__hip_cuid_f648136dc20b66c4
__hip_cuid_f648136dc20b66c4:
	.byte	0                               ; 0x0
	.size	__hip_cuid_f648136dc20b66c4, 1

	.ident	"AMD clang version 19.0.0git (https://github.com/RadeonOpenCompute/llvm-project roc-6.4.0 25133 c7fe45cf4b819c5991fe208aaa96edf142730f1d)"
	.section	".note.GNU-stack","",@progbits
	.addrsig
	.addrsig_sym __hip_cuid_f648136dc20b66c4
	.amdgpu_metadata
---
amdhsa.kernels:
  - .args:
      - .actual_access:  read_only
        .address_space:  global
        .offset:         0
        .size:           8
        .value_kind:     global_buffer
      - .offset:         8
        .size:           8
        .value_kind:     by_value
      - .actual_access:  read_only
        .address_space:  global
        .offset:         16
        .size:           8
        .value_kind:     global_buffer
      - .actual_access:  read_only
        .address_space:  global
        .offset:         24
        .size:           8
        .value_kind:     global_buffer
      - .actual_access:  read_only
        .address_space:  global
        .offset:         32
        .size:           8
        .value_kind:     global_buffer
      - .offset:         40
        .size:           8
        .value_kind:     by_value
      - .actual_access:  read_only
        .address_space:  global
        .offset:         48
        .size:           8
        .value_kind:     global_buffer
      - .actual_access:  read_only
        .address_space:  global
        .offset:         56
        .size:           8
        .value_kind:     global_buffer
      - .offset:         64
        .size:           4
        .value_kind:     by_value
      - .actual_access:  read_only
        .address_space:  global
        .offset:         72
        .size:           8
        .value_kind:     global_buffer
      - .actual_access:  read_only
        .address_space:  global
        .offset:         80
        .size:           8
        .value_kind:     global_buffer
      - .actual_access:  read_only
        .address_space:  global
        .offset:         88
        .size:           8
        .value_kind:     global_buffer
      - .actual_access:  write_only
        .address_space:  global
        .offset:         96
        .size:           8
        .value_kind:     global_buffer
    .group_segment_fixed_size: 0
    .kernarg_segment_align: 8
    .kernarg_segment_size: 104
    .language:       OpenCL C
    .language_version:
      - 2
      - 0
    .max_flat_workgroup_size: 210
    .name:           fft_rtc_back_len490_factors_10_7_7_wgs_210_tpt_70_dp_op_CI_CI_unitstride_sbrr_dirReg
    .private_segment_fixed_size: 0
    .sgpr_count:     32
    .sgpr_spill_count: 0
    .symbol:         fft_rtc_back_len490_factors_10_7_7_wgs_210_tpt_70_dp_op_CI_CI_unitstride_sbrr_dirReg.kd
    .uniform_work_group_size: 1
    .uses_dynamic_stack: false
    .vgpr_count:     77
    .vgpr_spill_count: 0
    .wavefront_size: 64
amdhsa.target:   amdgcn-amd-amdhsa--gfx906
amdhsa.version:
  - 1
  - 2
...

	.end_amdgpu_metadata
